;; amdgpu-corpus repo=ROCm/rocFFT kind=compiled arch=gfx1030 opt=O3
	.text
	.amdgcn_target "amdgcn-amd-amdhsa--gfx1030"
	.amdhsa_code_object_version 6
	.protected	fft_rtc_fwd_len336_factors_7_8_2_3_wgs_252_tpt_42_dim3_dp_op_CI_CI_sbcr_dirReg_intrinsicReadWrite ; -- Begin function fft_rtc_fwd_len336_factors_7_8_2_3_wgs_252_tpt_42_dim3_dp_op_CI_CI_sbcr_dirReg_intrinsicReadWrite
	.globl	fft_rtc_fwd_len336_factors_7_8_2_3_wgs_252_tpt_42_dim3_dp_op_CI_CI_sbcr_dirReg_intrinsicReadWrite
	.p2align	8
	.type	fft_rtc_fwd_len336_factors_7_8_2_3_wgs_252_tpt_42_dim3_dp_op_CI_CI_sbcr_dirReg_intrinsicReadWrite,@function
fft_rtc_fwd_len336_factors_7_8_2_3_wgs_252_tpt_42_dim3_dp_op_CI_CI_sbcr_dirReg_intrinsicReadWrite: ; @fft_rtc_fwd_len336_factors_7_8_2_3_wgs_252_tpt_42_dim3_dp_op_CI_CI_sbcr_dirReg_intrinsicReadWrite
; %bb.0:
	s_load_dwordx4 s[0:3], s[4:5], 0x8
	s_mov_b64 s[26:27], 0
	s_waitcnt lgkmcnt(0)
	s_load_dwordx2 s[22:23], s[0:1], 0x8
	s_waitcnt lgkmcnt(0)
	s_add_u32 s7, s22, -1
	s_addc_u32 s8, s23, -1
	s_add_u32 s9, 0, 0xaaa80000
	s_addc_u32 s10, 0, 0xaa
	s_mul_hi_u32 s12, s9, -6
	s_add_i32 s10, s10, 0x2aaaaa00
	s_sub_i32 s12, s12, s9
	s_mul_i32 s14, s10, -6
	s_mul_i32 s11, s9, -6
	s_add_i32 s12, s12, s14
	s_mul_hi_u32 s13, s9, s11
	s_mul_i32 s16, s9, s12
	s_mul_hi_u32 s14, s9, s12
	s_mul_hi_u32 s15, s10, s11
	s_mul_i32 s11, s10, s11
	s_add_u32 s13, s13, s16
	s_addc_u32 s14, 0, s14
	s_mul_hi_u32 s17, s10, s12
	s_add_u32 s11, s13, s11
	s_mul_i32 s12, s10, s12
	s_addc_u32 s11, s14, s15
	s_addc_u32 s13, s17, 0
	s_add_u32 s11, s11, s12
	v_add_co_u32 v1, s9, s9, s11
	s_addc_u32 s11, 0, s13
	s_cmp_lg_u32 s9, 0
	s_addc_u32 s9, s10, s11
	v_readfirstlane_b32 s10, v1
	s_mul_i32 s12, s7, s9
	s_mul_hi_u32 s11, s7, s9
	s_mul_hi_u32 s13, s8, s9
	s_mul_i32 s9, s8, s9
	s_mul_hi_u32 s14, s7, s10
	s_mul_hi_u32 s15, s8, s10
	s_mul_i32 s10, s8, s10
	s_add_u32 s12, s14, s12
	s_addc_u32 s11, 0, s11
	s_add_u32 s10, s12, s10
	s_addc_u32 s10, s11, s15
	s_addc_u32 s11, s13, 0
	s_add_u32 s9, s10, s9
	s_addc_u32 s10, 0, s11
	s_mul_i32 s12, s9, 6
	s_add_u32 s11, s9, 1
	v_sub_co_u32 v1, s7, s7, s12
	s_mul_hi_u32 s12, s9, 6
	s_addc_u32 s13, s10, 0
	s_mul_i32 s14, s10, 6
	v_sub_co_u32 v2, s15, v1, 6
	s_add_u32 s16, s9, 2
	s_addc_u32 s17, s10, 0
	s_add_i32 s12, s12, s14
	s_cmp_lg_u32 s7, 0
	v_readfirstlane_b32 s7, v2
	s_subb_u32 s8, s8, s12
	s_cmp_lg_u32 s15, 0
	s_subb_u32 s12, s8, 0
	s_cmp_gt_u32 s7, 5
	s_cselect_b32 s7, -1, 0
	s_cmp_eq_u32 s12, 0
	v_readfirstlane_b32 s12, v1
	s_cselect_b32 s7, s7, -1
	s_cmp_lg_u32 s7, 0
	s_cselect_b32 s11, s16, s11
	s_cselect_b32 s13, s17, s13
	s_cmp_gt_u32 s12, 5
	s_cselect_b32 s7, -1, 0
	s_cmp_eq_u32 s8, 0
	s_cselect_b32 s7, s7, -1
	s_cmp_lg_u32 s7, 0
	s_mov_b32 s7, 0
	s_cselect_b32 s8, s11, s9
	s_cselect_b32 s9, s13, s10
	s_add_u32 s10, s8, 1
	s_addc_u32 s11, s9, 0
	v_cmp_lt_u64_e64 s8, s[6:7], s[10:11]
	s_and_b32 vcc_lo, exec_lo, s8
	s_cbranch_vccnz .LBB0_2
; %bb.1:
	v_cvt_f32_u32_e32 v1, s10
	s_sub_i32 s9, 0, s10
	s_mov_b32 s27, s7
	v_rcp_iflag_f32_e32 v1, v1
	v_mul_f32_e32 v1, 0x4f7ffffe, v1
	v_cvt_u32_f32_e32 v1, v1
	v_readfirstlane_b32 s8, v1
	s_mul_i32 s9, s9, s8
	s_mul_hi_u32 s9, s8, s9
	s_add_i32 s8, s8, s9
	s_mul_hi_u32 s8, s6, s8
	s_mul_i32 s9, s8, s10
	s_add_i32 s12, s8, 1
	s_sub_i32 s9, s6, s9
	s_sub_i32 s13, s9, s10
	s_cmp_ge_u32 s9, s10
	s_cselect_b32 s8, s12, s8
	s_cselect_b32 s9, s13, s9
	s_add_i32 s12, s8, 1
	s_cmp_ge_u32 s9, s10
	s_cselect_b32 s26, s12, s8
.LBB0_2:
	s_load_dwordx2 s[18:19], s[0:1], 0x10
	s_clause 0x1
	s_load_dwordx2 s[24:25], s[4:5], 0x18
	s_load_dwordx2 s[8:9], s[4:5], 0x50
	s_load_dwordx4 s[12:15], s[2:3], 0x0
	s_mov_b64 s[16:17], s[26:27]
	s_waitcnt lgkmcnt(0)
	v_cmp_lt_u64_e64 s0, s[26:27], s[18:19]
	s_and_b32 vcc_lo, exec_lo, s0
	s_cbranch_vccnz .LBB0_4
; %bb.3:
	v_cvt_f32_u32_e32 v1, s18
	s_sub_i32 s1, 0, s18
	v_rcp_iflag_f32_e32 v1, v1
	v_mul_f32_e32 v1, 0x4f7ffffe, v1
	v_cvt_u32_f32_e32 v1, v1
	v_readfirstlane_b32 s0, v1
	s_mul_i32 s1, s1, s0
	s_mul_hi_u32 s1, s0, s1
	s_add_i32 s0, s0, s1
	s_mul_hi_u32 s0, s26, s0
	s_mul_i32 s0, s0, s18
	s_sub_i32 s0, s26, s0
	s_sub_i32 s1, s0, s18
	s_cmp_ge_u32 s0, s18
	s_cselect_b32 s0, s1, s0
	s_sub_i32 s1, s0, s18
	s_cmp_ge_u32 s0, s18
	s_cselect_b32 s16, s1, s0
.LBB0_4:
	s_load_dwordx2 s[20:21], s[4:5], 0x0
	s_load_dwordx2 s[0:1], s[2:3], 0x10
	s_mul_i32 s13, s18, s11
	s_waitcnt lgkmcnt(0)
	s_mul_hi_u32 s1, s18, s10
	s_mul_i32 s28, s18, s10
	s_add_i32 s1, s1, s13
	s_mul_i32 s13, s19, s10
	s_mov_b64 s[18:19], 0
	s_add_i32 s29, s1, s13
	v_cmp_lt_u64_e64 s1, s[6:7], s[28:29]
	s_and_b32 vcc_lo, exec_lo, s1
	s_cbranch_vccnz .LBB0_6
; %bb.5:
	v_cvt_f32_u32_e32 v1, s28
	s_sub_i32 s7, 0, s28
	v_rcp_iflag_f32_e32 v1, v1
	v_mul_f32_e32 v1, 0x4f7ffffe, v1
	v_cvt_u32_f32_e32 v1, v1
	v_readfirstlane_b32 s1, v1
	s_mul_i32 s7, s7, s1
	s_mul_hi_u32 s7, s1, s7
	s_add_i32 s1, s1, s7
	s_mul_hi_u32 s1, s6, s1
	s_mul_i32 s7, s1, s28
	s_add_i32 s13, s1, 1
	s_sub_i32 s7, s6, s7
	s_sub_i32 s15, s7, s28
	s_cmp_ge_u32 s7, s28
	s_cselect_b32 s1, s13, s1
	s_cselect_b32 s7, s15, s7
	s_add_i32 s13, s1, 1
	s_cmp_ge_u32 s7, s28
	s_cselect_b32 s18, s13, s1
.LBB0_6:
	v_mul_u32_u24_e32 v1, 0x2aab, v0
	s_load_dword s1, s[2:3], 0x18
	s_mul_i32 s2, s26, s11
	s_mul_hi_u32 s3, s26, s10
	s_mul_i32 s7, s26, s10
	v_lshrrev_b32_e32 v57, 16, v1
	s_add_i32 s3, s3, s2
	s_sub_u32 s2, s6, s7
	s_mul_i32 s0, s0, s16
	s_mul_i32 s17, s2, 6
	v_mul_lo_u16 v1, v57, 6
	s_subb_u32 s3, 0, s3
	s_mul_hi_u32 s6, s2, 6
	s_mul_i32 s2, s14, s17
	v_add_nc_u32_e32 v2, 48, v57
	v_sub_nc_u16 v1, v0, v1
	v_add_nc_u32_e32 v4, 0xf0, v57
	s_mul_i32 s3, s3, 6
	s_add_i32 s0, s0, s2
	v_add_nc_u32_e32 v3, 0x120, v57
	v_and_b32_e32 v59, 0xffff, v1
	s_waitcnt lgkmcnt(0)
	s_mul_i32 s1, s1, s18
	v_add_nc_u32_e32 v5, 0x60, v57
	s_add_i32 s19, s6, s3
	s_add_i32 s1, s1, s0
	v_add_co_u32 v1, s0, s17, v59
	v_mul_lo_u32 v53, s14, v59
	v_mul_lo_u32 v6, s12, v2
	v_add_co_ci_u32_e64 v2, null, s19, 0, s0
	v_mul_lo_u32 v4, s12, v4
	v_mul_lo_u32 v3, s12, v3
	s_add_u32 s2, s17, 6
	v_mul_lo_u32 v5, s12, v5
	s_addc_u32 s3, s19, 0
	v_cmp_gt_u64_e32 vcc_lo, s[22:23], v[1:2]
	v_cmp_le_u64_e64 s7, s[2:3], s[22:23]
	v_add_lshl_u32 v6, v53, v6, 4
	v_add_lshl_u32 v2, v53, v4, 4
	;; [unrolled: 1-line block ×3, first 2 shown]
	s_lshl_b32 s6, s1, 4
	v_add_lshl_u32 v3, v53, v5, 4
	s_or_b32 s1, s7, vcc_lo
	v_or_b32_e32 v13, 0xc0, v57
	v_cndmask_b32_e64 v4, -1, v6, s1
	v_cndmask_b32_e64 v14, -1, v2, s1
	v_cndmask_b32_e64 v5, -1, v1, s1
	v_cndmask_b32_e64 v9, -1, v3, s1
	s_mov_b32 s11, 0x31014000
	s_mov_b32 s10, -2
	v_add_nc_u32_e32 v17, 0x90, v57
	s_clause 0x2
	buffer_load_dwordx4 v[1:4], v4, s[8:11], s6 offen
	buffer_load_dwordx4 v[5:8], v5, s[8:11], s6 offen
	;; [unrolled: 1-line block ×3, first 2 shown]
	v_mul_lo_u32 v18, s12, v13
	buffer_load_dwordx4 v[13:16], v14, s[8:11], s6 offen
	v_cndmask_b32_e64 v25, 0, 1, vcc_lo
	v_mul_lo_u32 v17, s12, v17
	v_cmp_gt_u32_e32 vcc_lo, 36, v0
	v_cmp_lt_u32_e64 s0, 35, v0
	v_add_nc_u32_e32 v26, 0x14a, v57
	v_add_nc_u32_e32 v28, 0x5a, v57
	v_add_lshl_u32 v18, v53, v18, 4
	v_cndmask_b32_e64 v27, 0, 1, vcc_lo
	v_add_nc_u32_e32 v29, 0xba, v57
	v_add_lshl_u32 v17, v53, v17, 4
	s_or_b32 s0, s0, s7
	v_cndmask_b32_e64 v18, -1, v18, s1
	v_add_nc_u32_e32 v30, 0xea, v57
	v_cndmask_b32_e64 v25, v25, v27, s0
	v_cndmask_b32_e64 v21, -1, v17, s1
	s_clause 0x1
	buffer_load_dwordx4 v[17:20], v18, s[8:11], s6 offen
	buffer_load_dwordx4 v[21:24], v21, s[8:11], s6 offen
	v_mul_lo_u32 v26, s12, v26
	v_mul_lo_u32 v27, s12, v28
	v_mul_lo_u32 v41, s12, v57
	v_mul_lo_u32 v28, s12, v29
	v_mul_lo_u32 v29, s12, v30
	v_and_b32_e32 v25, 1, v25
	v_add_nc_u32_e32 v45, 0x11a, v57
	v_add_nc_u32_e32 v46, 0x8a, v57
	v_add_lshl_u32 v26, v53, v26, 4
	v_add_lshl_u32 v27, v53, v27, 4
	v_cmp_eq_u32_e64 s0, 1, v25
	v_add_lshl_u32 v41, v53, v41, 4
	v_add_lshl_u32 v30, v53, v28, 4
	;; [unrolled: 1-line block ×3, first 2 shown]
	v_mul_lo_u32 v45, s12, v45
	v_cndmask_b32_e64 v25, -1, v26, s0
	v_cndmask_b32_e64 v31, -1, v27, s0
	;; [unrolled: 1-line block ×5, first 2 shown]
	s_clause 0x4
	buffer_load_dwordx4 v[25:28], v25, s[8:11], s6 offen
	buffer_load_dwordx4 v[29:32], v31, s[8:11], s6 offen
	;; [unrolled: 1-line block ×5, first 2 shown]
	v_mul_lo_u32 v46, s12, v46
	v_add_lshl_u32 v45, v53, v45, 4
	v_add_nc_u32_e32 v58, 42, v57
	s_mov_b32 s28, 0x36b3c0b5
	s_mov_b32 s29, 0x3fac98ee
	;; [unrolled: 1-line block ×3, first 2 shown]
	v_cndmask_b32_e64 v45, -1, v45, s0
	v_mul_lo_u32 v54, s12, v58
	v_add_lshl_u32 v46, v53, v46, 4
	s_mov_b32 s13, 0xbfd5d0dc
	s_mov_b32 s27, 0x3fe77f67
	;; [unrolled: 1-line block ×4, first 2 shown]
	v_cndmask_b32_e64 v49, -1, v46, s0
	s_clause 0x1
	buffer_load_dwordx4 v[45:48], v45, s[8:11], s6 offen
	buffer_load_dwordx4 v[49:52], v49, s[8:11], s6 offen
	v_add_lshl_u32 v53, v53, v54, 4
	s_mov_b32 s34, 0x37c3f68c
	s_mov_b32 s35, 0x3fdc38aa
	v_cmp_gt_u64_e64 s22, s[2:3], s[22:23]
	v_cndmask_b32_e64 v53, -1, v53, s0
	s_mov_b32 s0, 0x429ad128
	s_mov_b32 s1, 0x3febfeb5
	buffer_load_dwordx4 v[53:56], v53, s[8:11], s6 offen
	s_mov_b32 s6, 0xe976ee23
	s_mov_b32 s10, 0x37e14327
	;; [unrolled: 1-line block ×7, first 2 shown]
	s_waitcnt vmcnt(12)
	v_add_f64 v[60:61], v[1:2], v[5:6]
	v_add_f64 v[62:63], v[3:4], v[7:8]
	v_add_f64 v[5:6], v[1:2], -v[5:6]
	s_waitcnt vmcnt(10)
	v_add_f64 v[64:65], v[9:10], v[13:14]
	v_add_f64 v[66:67], v[11:12], v[15:16]
	v_add_f64 v[68:69], v[9:10], -v[13:14]
	v_add_f64 v[70:71], v[11:12], -v[15:16]
	;; [unrolled: 1-line block ×3, first 2 shown]
	s_waitcnt vmcnt(8)
	v_add_f64 v[72:73], v[21:22], v[17:18]
	v_add_f64 v[74:75], v[23:24], v[19:20]
	v_add_f64 v[17:18], v[17:18], -v[21:22]
	v_add_f64 v[9:10], v[64:65], v[60:61]
	v_add_f64 v[11:12], v[66:67], v[62:63]
	v_add_f64 v[19:20], v[19:20], -v[23:24]
	s_waitcnt vmcnt(6)
	v_add_f64 v[13:14], v[31:32], v[27:28]
	v_add_f64 v[15:16], v[29:30], -v[25:26]
	s_waitcnt vmcnt(4)
	v_add_f64 v[76:77], v[39:40], -v[35:36]
	v_add_f64 v[21:22], v[72:73], v[9:10]
	v_add_f64 v[23:24], v[74:75], v[11:12]
	;; [unrolled: 1-line block ×3, first 2 shown]
	v_add_f64 v[11:12], v[31:32], -v[27:28]
	v_add_f64 v[25:26], v[33:34], v[37:38]
	v_add_f64 v[27:28], v[17:18], -v[68:69]
	v_add_f64 v[29:30], v[68:69], -v[5:6]
	v_add_f64 v[31:32], v[35:36], v[39:40]
	v_add_f64 v[33:34], v[37:38], -v[33:34]
	v_add_f64 v[35:36], v[19:20], -v[70:71]
	;; [unrolled: 1-line block ×5, first 2 shown]
	s_waitcnt vmcnt(3)
	v_add_f64 v[1:2], v[41:42], v[21:22]
	v_add_f64 v[3:4], v[43:44], v[23:24]
	v_add_f64 v[41:42], v[72:73], -v[64:65]
	v_add_f64 v[43:44], v[17:18], v[68:69]
	v_add_f64 v[64:65], v[66:67], -v[62:63]
	v_add_f64 v[68:69], v[19:20], v[70:71]
	v_add_f64 v[70:71], v[5:6], -v[17:18]
	v_mul_f64 v[27:28], v[27:28], s[6:7]
	v_mul_f64 v[72:73], v[29:30], s[0:1]
	v_add_f64 v[66:67], v[74:75], -v[66:67]
	v_add_f64 v[62:63], v[62:63], -v[74:75]
	;; [unrolled: 1-line block ×3, first 2 shown]
	v_mul_f64 v[35:36], v[35:36], s[6:7]
	v_mul_f64 v[74:75], v[37:38], s[0:1]
	s_waitcnt vmcnt(1)
	v_add_f64 v[17:18], v[49:50], v[45:46]
	v_mul_f64 v[60:61], v[60:61], s[10:11]
	v_add_f64 v[86:87], v[13:14], -v[31:32]
	v_add_f64 v[88:89], v[15:16], -v[33:34]
	v_add_f64 v[5:6], v[43:44], v[5:6]
	v_mul_f64 v[43:44], v[41:42], s[28:29]
	v_add_f64 v[7:8], v[68:69], v[7:8]
	v_fma_f64 v[29:30], v[29:30], s[0:1], -v[27:28]
	v_fma_f64 v[68:69], v[70:71], s[12:13], -v[72:73]
	v_fma_f64 v[27:28], v[70:71], s[8:9], v[27:28]
	v_mul_f64 v[70:71], v[66:67], s[28:29]
	v_mul_f64 v[62:63], v[62:63], s[10:11]
	v_fma_f64 v[37:38], v[37:38], s[0:1], -v[35:36]
	v_fma_f64 v[72:73], v[19:20], s[12:13], -v[74:75]
	v_fma_f64 v[35:36], v[19:20], s[8:9], v[35:36]
	v_add_f64 v[19:20], v[51:52], v[47:48]
	v_fma_f64 v[41:42], v[41:42], s[28:29], v[60:61]
	s_mov_b32 s12, 0xaaaaaaaa
	s_mov_b32 s13, 0xbff2aaaa
	v_fma_f64 v[74:75], v[21:22], s[12:13], v[1:2]
	v_fma_f64 v[23:24], v[23:24], s[12:13], v[3:4]
	v_add_f64 v[21:22], v[49:50], -v[45:46]
	v_fma_f64 v[43:44], v[39:40], s[26:27], -v[43:44]
	v_fma_f64 v[39:40], v[39:40], s[30:31], -v[60:61]
	v_add_f64 v[60:61], v[17:18], v[9:10]
	v_fma_f64 v[29:30], v[5:6], s[34:35], v[29:30]
	v_fma_f64 v[68:69], v[5:6], s[34:35], v[68:69]
	;; [unrolled: 1-line block ×3, first 2 shown]
	v_fma_f64 v[70:71], v[64:65], s[26:27], -v[70:71]
	v_fma_f64 v[64:65], v[64:65], s[30:31], -v[62:63]
	v_fma_f64 v[62:63], v[66:67], s[28:29], v[62:63]
	v_fma_f64 v[37:38], v[7:8], s[34:35], v[37:38]
	;; [unrolled: 1-line block ×3, first 2 shown]
	v_add_f64 v[66:67], v[19:20], v[13:14]
	v_add_f64 v[27:28], v[25:26], -v[17:18]
	v_add_f64 v[43:44], v[43:44], v[74:75]
	v_add_f64 v[78:79], v[25:26], v[60:61]
	v_mad_u32_u24 v60, 0x2a0, v57, 0
	v_add_f64 v[49:50], v[70:71], v[23:24]
	v_fma_f64 v[70:71], v[7:8], s[34:35], v[35:36]
	v_add_f64 v[72:73], v[64:65], v[23:24]
	v_add_f64 v[84:85], v[62:63], v[23:24]
	v_add_f64 v[23:24], v[51:52], -v[47:48]
	v_add_f64 v[80:81], v[31:32], v[66:67]
	v_add_f64 v[66:67], v[39:40], v[74:75]
	v_add_f64 v[74:75], v[41:42], v[74:75]
	v_add_f64 v[51:52], v[9:10], -v[25:26]
	v_lshl_add_u32 v61, v59, 4, v60
	v_add_f64 v[35:36], v[31:32], -v[19:20]
	v_add_f64 v[25:26], v[33:34], v[21:22]
	ds_write_b128 v61, v[1:4]
	v_add_f64 v[1:2], v[43:44], -v[37:38]
	v_add_f64 v[62:63], v[37:38], v[43:44]
	s_waitcnt vmcnt(0)
	v_add_f64 v[5:6], v[53:54], v[78:79]
	v_add_f64 v[53:54], v[11:12], -v[76:77]
	v_mul_f64 v[37:38], v[86:87], s[10:11]
	v_mul_f64 v[43:44], v[88:89], s[8:9]
	v_add_f64 v[3:4], v[29:30], v[49:50]
	v_add_f64 v[64:65], v[49:50], -v[29:30]
	v_add_f64 v[41:42], v[72:73], -v[68:69]
	;; [unrolled: 1-line block ×3, first 2 shown]
	v_add_f64 v[29:30], v[76:77], v[23:24]
	v_add_f64 v[7:8], v[55:56], v[80:81]
	;; [unrolled: 1-line block ×3, first 2 shown]
	v_add_f64 v[66:67], v[66:67], -v[45:46]
	v_add_f64 v[45:46], v[70:71], v[74:75]
	v_mul_f64 v[31:32], v[51:52], s[10:11]
	v_add_f64 v[55:56], v[33:34], -v[21:22]
	v_add_f64 v[51:52], v[76:77], -v[23:24]
	;; [unrolled: 1-line block ×3, first 2 shown]
	v_add_f64 v[68:69], v[68:69], v[72:73]
	v_add_f64 v[72:73], v[82:83], v[84:85]
	v_mul_f64 v[33:34], v[53:54], s[8:9]
	v_add_f64 v[53:54], v[25:26], v[15:16]
	ds_write_b128 v61, v[1:4] offset:288
	v_add_f64 v[49:50], v[29:30], v[11:12]
	ds_write_b128 v61, v[39:42] offset:192
	v_fma_f64 v[39:40], v[78:79], s[12:13], v[5:6]
	ds_write_b128 v61, v[45:48] offset:96
	v_fma_f64 v[29:30], v[27:28], s[28:29], v[31:32]
	v_fma_f64 v[45:46], v[35:36], s[28:29], v[37:38]
	v_fma_f64 v[25:26], v[55:56], s[6:7], v[43:44]
	v_fma_f64 v[47:48], v[80:81], s[12:13], v[7:8]
	s_load_dwordx8 s[8:15], s[24:25], 0x0
	ds_write_b128 v61, v[62:65] offset:384
	ds_write_b128 v61, v[66:69] offset:480
	;; [unrolled: 1-line block ×3, first 2 shown]
	v_fma_f64 v[74:75], v[51:52], s[6:7], v[33:34]
	v_add_f64 v[29:30], v[29:30], v[39:40]
	v_fma_f64 v[41:42], v[53:54], s[34:35], v[25:26]
	v_add_f64 v[45:46], v[45:46], v[47:48]
	v_fma_f64 v[25:26], v[49:50], s[34:35], v[74:75]
	v_add_f64 v[3:4], v[45:46], -v[41:42]
	v_add_f64 v[1:2], v[25:26], v[29:30]
	s_and_saveexec_b32 s2, vcc_lo
	s_cbranch_execz .LBB0_8
; %bb.7:
	v_add_f64 v[15:16], v[21:22], -v[15:16]
	v_add_f64 v[13:14], v[19:20], -v[13:14]
	v_mul_f64 v[19:20], v[35:36], s[28:29]
	v_mul_f64 v[21:22], v[55:56], s[6:7]
	v_add_f64 v[9:10], v[17:18], -v[9:10]
	v_add_f64 v[11:12], v[23:24], -v[11:12]
	v_mul_f64 v[17:18], v[27:28], s[28:29]
	v_mul_f64 v[23:24], v[51:52], s[6:7]
	s_mov_b32 s7, 0xbfebfeb5
	s_mov_b32 s6, s0
	v_mul_f64 v[27:28], v[53:54], s[34:35]
	v_mul_f64 v[35:36], v[49:50], s[34:35]
	v_fma_f64 v[43:44], v[15:16], s[6:7], -v[43:44]
	v_fma_f64 v[37:38], v[13:14], s[30:31], -v[37:38]
	;; [unrolled: 1-line block ×8, first 2 shown]
	v_add_f64 v[17:18], v[27:28], v[43:44]
	v_add_f64 v[31:32], v[37:38], v[47:48]
	;; [unrolled: 1-line block ×10, first 2 shown]
	v_add_f64 v[33:34], v[31:32], -v[17:18]
	v_add_f64 v[19:20], v[13:14], -v[23:24]
	v_add_f64 v[23:24], v[23:24], v[13:14]
	v_add_f64 v[31:32], v[37:38], v[27:28]
	v_add_f64 v[13:14], v[27:28], -v[37:38]
	v_add_f64 v[21:22], v[9:10], -v[35:36]
	v_add_f64 v[17:18], v[35:36], v[9:10]
	v_add_f64 v[9:10], v[29:30], -v[25:26]
	ds_write_b128 v61, v[5:8] offset:28224
	ds_write_b128 v61, v[1:4] offset:28320
	;; [unrolled: 1-line block ×7, first 2 shown]
.LBB0_8:
	s_or_b32 exec_lo, exec_lo, s2
	v_mul_lo_u16 v71, v57, 37
	v_mov_b32_e32 v6, 7
	s_waitcnt lgkmcnt(0)
	s_barrier
	buffer_gl0_inv
	v_lshrrev_b16 v72, 8, v71
	v_mul_i32_i24_e32 v33, 0xfffffdc0, v57
	v_lshlrev_b32_e32 v38, 4, v59
	s_mov_b32 s0, 0x667f3bcd
	s_mov_b32 s1, 0xbfe6a09e
	v_mul_lo_u16 v5, v72, 7
	s_mov_b32 s3, 0x3fe6a09e
	v_add3_u32 v37, v60, v33, v38
	s_mov_b32 s2, s0
	v_cmp_gt_u32_e32 vcc_lo, 0xa8, v0
	v_sub_nc_u16 v73, v57, v5
	v_add_nc_u32_e32 v74, 0x2800, v37
	v_mul_u32_u24_sdwa v5, v73, v6 dst_sel:DWORD dst_unused:UNUSED_PAD src0_sel:BYTE_0 src1_sel:DWORD
	v_lshlrev_b32_e32 v29, 4, v5
	s_clause 0x6
	global_load_dwordx4 v[5:8], v29, s[20:21]
	global_load_dwordx4 v[9:12], v29, s[20:21] offset:16
	global_load_dwordx4 v[13:16], v29, s[20:21] offset:48
	;; [unrolled: 1-line block ×6, first 2 shown]
	ds_read_b128 v[33:36], v37 offset:4032
	ds_read_b128 v[39:42], v37 offset:8064
	;; [unrolled: 1-line block ×3, first 2 shown]
	ds_read_b128 v[47:50], v37
	ds_read_b128 v[51:54], v37 offset:24192
	ds_read_b128 v[59:62], v37 offset:20160
	ds_read2_b64 v[63:66], v74 offset0:232 offset1:233
	s_waitcnt vmcnt(6) lgkmcnt(6)
	v_mul_f64 v[55:56], v[35:36], v[7:8]
	v_mul_f64 v[7:8], v[33:34], v[7:8]
	s_waitcnt vmcnt(5) lgkmcnt(5)
	v_mul_f64 v[67:68], v[41:42], v[11:12]
	v_mul_f64 v[11:12], v[39:40], v[11:12]
	;; [unrolled: 3-line block ×3, first 2 shown]
	v_fma_f64 v[33:34], v[33:34], v[5:6], -v[55:56]
	v_fma_f64 v[35:36], v[35:36], v[5:6], v[7:8]
	ds_read_b128 v[5:8], v37 offset:28224
	s_waitcnt vmcnt(3) lgkmcnt(3)
	v_mul_f64 v[55:56], v[53:54], v[19:20]
	v_fma_f64 v[39:40], v[39:40], v[9:10], -v[67:68]
	v_fma_f64 v[9:10], v[41:42], v[9:10], v[11:12]
	v_mul_f64 v[11:12], v[51:52], v[19:20]
	s_waitcnt vmcnt(2) lgkmcnt(2)
	v_mul_f64 v[19:20], v[61:62], v[23:24]
	v_mul_f64 v[23:24], v[59:60], v[23:24]
	s_waitcnt vmcnt(1) lgkmcnt(1)
	v_mul_f64 v[41:42], v[65:66], v[27:28]
	v_fma_f64 v[43:44], v[43:44], v[13:14], -v[69:70]
	v_fma_f64 v[13:14], v[45:46], v[13:14], v[15:16]
	v_mul_f64 v[15:16], v[63:64], v[27:28]
	s_waitcnt vmcnt(0) lgkmcnt(0)
	s_barrier
	buffer_gl0_inv
	v_mul_f64 v[27:28], v[7:8], v[31:32]
	v_mul_f64 v[31:32], v[5:6], v[31:32]
	v_fma_f64 v[45:46], v[51:52], v[17:18], -v[55:56]
	v_lshrrev_b16 v56, 11, v71
	v_fma_f64 v[11:12], v[53:54], v[17:18], v[11:12]
	v_fma_f64 v[17:18], v[59:60], v[21:22], -v[19:20]
	v_fma_f64 v[19:20], v[61:62], v[21:22], v[23:24]
	v_fma_f64 v[21:22], v[63:64], v[25:26], -v[41:42]
	v_add_f64 v[23:24], v[47:48], -v[43:44]
	v_add_f64 v[13:14], v[49:50], -v[13:14]
	v_fma_f64 v[15:16], v[65:66], v[25:26], v[15:16]
	v_add_nc_u32_e32 v54, 0x7e, v57
	v_fma_f64 v[5:6], v[5:6], v[29:30], -v[27:28]
	v_fma_f64 v[7:8], v[7:8], v[29:30], v[31:32]
	v_add_f64 v[25:26], v[39:40], -v[45:46]
	v_add_f64 v[11:12], v[9:10], -v[11:12]
	;; [unrolled: 1-line block ×4, first 2 shown]
	v_fma_f64 v[27:28], v[47:48], 2.0, -v[23:24]
	v_fma_f64 v[29:30], v[49:50], 2.0, -v[13:14]
	v_add_f64 v[5:6], v[21:22], -v[5:6]
	v_add_f64 v[7:8], v[15:16], -v[7:8]
	v_fma_f64 v[31:32], v[39:40], 2.0, -v[25:26]
	v_add_f64 v[42:43], v[13:14], v[25:26]
	v_add_nc_u16 v39, v57, 0x54
	v_fma_f64 v[9:10], v[9:10], 2.0, -v[11:12]
	v_fma_f64 v[33:34], v[33:34], 2.0, -v[17:18]
	;; [unrolled: 1-line block ×3, first 2 shown]
	v_add_f64 v[40:41], v[23:24], -v[11:12]
	v_fma_f64 v[11:12], v[21:22], 2.0, -v[5:6]
	v_fma_f64 v[15:16], v[15:16], 2.0, -v[7:8]
	v_add_f64 v[21:22], v[17:18], -v[7:8]
	v_add_f64 v[25:26], v[19:20], v[5:6]
	v_add_f64 v[31:32], v[27:28], -v[31:32]
	v_fma_f64 v[48:49], v[13:14], 2.0, -v[42:43]
	v_add_f64 v[44:45], v[29:30], -v[9:10]
	v_fma_f64 v[46:47], v[23:24], 2.0, -v[40:41]
	v_add_f64 v[7:8], v[33:34], -v[11:12]
	v_add_f64 v[5:6], v[35:36], -v[15:16]
	v_fma_f64 v[23:24], v[17:18], 2.0, -v[21:22]
	v_fma_f64 v[17:18], v[19:20], 2.0, -v[25:26]
	v_fma_f64 v[9:10], v[21:22], s[2:3], v[40:41]
	v_fma_f64 v[11:12], v[25:26], s[2:3], v[42:43]
	v_fma_f64 v[50:51], v[27:28], 2.0, -v[31:32]
	v_fma_f64 v[52:53], v[29:30], 2.0, -v[44:45]
	v_mul_lo_u16 v29, 0x93, v58
	v_lshrrev_b16 v30, 3, v39
	v_lshrrev_b16 v63, 13, v29
	v_fma_f64 v[13:14], v[33:34], 2.0, -v[7:8]
	v_fma_f64 v[15:16], v[35:36], 2.0, -v[5:6]
	v_fma_f64 v[19:20], v[23:24], s[0:1], v[46:47]
	v_fma_f64 v[27:28], v[17:18], s[0:1], v[48:49]
	v_add_f64 v[5:6], v[31:32], -v[5:6]
	v_add_f64 v[7:8], v[44:45], v[7:8]
	v_fma_f64 v[9:10], v[25:26], s[0:1], v[9:10]
	v_fma_f64 v[11:12], v[21:22], s[2:3], v[11:12]
	v_mul_u32_u24_e32 v21, 0x493, v54
	v_mov_b32_e32 v22, 56
	v_mul_lo_u16 v25, v63, 56
	v_lshrrev_b32_e32 v64, 16, v21
	v_mul_u32_u24_sdwa v21, v72, v22 dst_sel:DWORD dst_unused:UNUSED_PAD src0_sel:WORD_0 src1_sel:DWORD
	v_sub_nc_u16 v59, v58, v25
	v_mul_lo_u16 v60, v64, 56
	v_or_b32_sdwa v61, v21, v73 dst_sel:DWORD dst_unused:UNUSED_PAD src0_sel:DWORD src1_sel:BYTE_0
	v_and_b32_e32 v67, 0xff, v59
	v_add_f64 v[13:14], v[50:51], -v[13:14]
	v_add_f64 v[15:16], v[52:53], -v[15:16]
	v_fma_f64 v[17:18], v[17:18], s[0:1], v[19:20]
	v_fma_f64 v[19:20], v[23:24], s[2:3], v[27:28]
	v_mul_lo_u16 v23, v30, 37
	v_mul_lo_u16 v24, v56, 56
	v_fma_f64 v[21:22], v[31:32], 2.0, -v[5:6]
	v_fma_f64 v[25:26], v[40:41], 2.0, -v[9:10]
	;; [unrolled: 1-line block ×3, first 2 shown]
	v_lshrrev_b16 v65, 8, v23
	v_sub_nc_u16 v55, v57, v24
	v_fma_f64 v[23:24], v[44:45], 2.0, -v[7:8]
	v_sub_nc_u16 v40, v54, v60
	v_mul_u32_u24_e32 v42, 0x60, v61
	v_mul_lo_u16 v62, v65, 56
	v_and_b32_e32 v66, 0xff, v55
	v_lshlrev_b32_e32 v44, 4, v67
	v_and_b32_e32 v68, 0xffff, v40
	v_add3_u32 v40, 0, v42, v38
	v_sub_nc_u16 v41, v39, v62
	v_lshlrev_b32_e32 v43, 4, v66
	v_fma_f64 v[29:30], v[50:51], 2.0, -v[13:14]
	v_fma_f64 v[31:32], v[52:53], 2.0, -v[15:16]
	;; [unrolled: 1-line block ×4, first 2 shown]
	v_and_b32_e32 v69, 0xff, v41
	ds_write_b128 v40, v[5:8] offset:4032
	ds_write_b128 v40, v[9:12] offset:4704
	;; [unrolled: 1-line block ×6, first 2 shown]
	ds_write_b128 v40, v[29:32]
	ds_write_b128 v40, v[33:36] offset:672
	v_lshlrev_b32_e32 v41, 4, v69
	s_waitcnt lgkmcnt(0)
	s_barrier
	buffer_gl0_inv
	global_load_dwordx4 v[5:8], v43, s[20:21] offset:784
	v_lshlrev_b32_e32 v17, 4, v68
	s_clause 0x2
	global_load_dwordx4 v[9:12], v44, s[20:21] offset:784
	global_load_dwordx4 v[13:16], v41, s[20:21] offset:784
	;; [unrolled: 1-line block ×3, first 2 shown]
	ds_read_b128 v[21:24], v37 offset:16128
	ds_read_b128 v[25:28], v37 offset:20160
	;; [unrolled: 1-line block ×5, first 2 shown]
	ds_read_b128 v[44:47], v37
	ds_read_b128 v[48:51], v37 offset:4032
	s_waitcnt vmcnt(3) lgkmcnt(6)
	v_mul_f64 v[52:53], v[23:24], v[7:8]
	v_mul_f64 v[7:8], v[21:22], v[7:8]
	s_waitcnt vmcnt(2) lgkmcnt(5)
	v_mul_f64 v[54:55], v[27:28], v[11:12]
	v_mul_f64 v[11:12], v[25:26], v[11:12]
	;; [unrolled: 3-line block ×4, first 2 shown]
	v_fma_f64 v[21:22], v[21:22], v[5:6], -v[52:53]
	v_fma_f64 v[5:6], v[23:24], v[5:6], v[7:8]
	v_fma_f64 v[7:8], v[25:26], v[9:10], -v[54:55]
	v_fma_f64 v[23:24], v[27:28], v[9:10], v[11:12]
	;; [unrolled: 2-line block ×4, first 2 shown]
	ds_read2_b64 v[9:12], v74 offset0:232 offset1:233
	v_and_b32_e32 v52, 0xffff, v65
	s_waitcnt lgkmcnt(0)
	s_barrier
	buffer_gl0_inv
	v_add_f64 v[13:14], v[44:45], -v[21:22]
	v_add_f64 v[15:16], v[46:47], -v[5:6]
	;; [unrolled: 1-line block ×8, first 2 shown]
	v_and_b32_e32 v25, 0xffff, v56
	v_and_b32_e32 v26, 0xffff, v63
	v_mad_u32_u24 v53, 0x70, v25, v66
	v_mad_u32_u24 v54, 0x70, v26, v67
	v_fma_f64 v[25:26], v[44:45], 2.0, -v[13:14]
	v_fma_f64 v[27:28], v[46:47], 2.0, -v[15:16]
	;; [unrolled: 1-line block ×8, first 2 shown]
	v_mad_u32_u24 v41, 0x70, v52, v69
	v_mad_u32_u24 v40, 0x70, v64, v68
	v_mul_u32_u24_e32 v42, 0x60, v53
	v_mul_u32_u24_e32 v43, 0x60, v54
	;; [unrolled: 1-line block ×4, first 2 shown]
	v_add3_u32 v42, 0, v42, v38
	v_add3_u32 v43, 0, v43, v38
	;; [unrolled: 1-line block ×4, first 2 shown]
	ds_write_b128 v42, v[13:16] offset:5376
	ds_write_b128 v42, v[25:28]
	ds_write_b128 v43, v[29:32]
	ds_write_b128 v43, v[17:20] offset:5376
	ds_write_b128 v41, v[33:36]
	ds_write_b128 v41, v[21:24] offset:5376
	;; [unrolled: 2-line block ×3, first 2 shown]
	s_waitcnt lgkmcnt(0)
	s_barrier
	buffer_gl0_inv
	ds_read_b128 v[17:20], v37
	ds_read_b128 v[13:16], v37 offset:4032
	ds_read_b128 v[29:32], v37 offset:10752
	ds_read_b128 v[21:24], v37 offset:14784
	ds_read_b128 v[33:36], v37 offset:21504
	ds_read_b128 v[25:28], v37 offset:25536
	s_and_saveexec_b32 s0, vcc_lo
	s_cbranch_execz .LBB0_10
; %bb.9:
	v_add_nc_u32_e32 v1, 0x1f80, v37
	ds_read_b128 v[9:12], v1
	ds_read_b128 v[5:8], v37 offset:18816
	ds_read_b128 v[1:4], v37 offset:29568
.LBB0_10:
	s_or_b32 exec_lo, exec_lo, s0
	v_lshlrev_b32_e32 v40, 1, v57
	v_cmp_gt_u32_e64 s0, 0x2a0, v0
	v_add_nc_u32_e32 v43, 0xffffffba, v57
	v_mov_b32_e32 v41, 0
	s_mov_b32 s6, 0xe8584caa
	v_add_nc_u32_e32 v42, 0xffffff20, v40
	s_mov_b32 s7, 0x3febb67a
	s_mov_b32 s1, 0xbfebb67a
	s_load_dwordx2 s[2:3], s[4:5], 0x58
	v_cndmask_b32_e64 v40, v42, v40, s0
	v_cmp_gt_u32_e64 s0, 0x1a4, v0
	v_cndmask_b32_e64 v44, v43, v58, s0
	v_lshlrev_b64 v[42:43], 4, v[40:41]
	v_lshlrev_b32_e32 v40, 1, v44
	v_add_co_u32 v44, s0, s20, v42
	v_add_co_ci_u32_e64 v45, s0, s21, v43, s0
	v_lshlrev_b64 v[40:41], 4, v[40:41]
	v_add_co_u32 v52, s0, s20, v40
	v_add_co_ci_u32_e64 v53, s0, s21, v41, s0
	s_clause 0x3
	global_load_dwordx4 v[40:43], v[44:45], off offset:1680
	global_load_dwordx4 v[44:47], v[44:45], off offset:1696
	;; [unrolled: 1-line block ×4, first 2 shown]
	v_cmp_lt_u32_e64 s0, 0x29f, v0
	s_waitcnt vmcnt(0) lgkmcnt(0)
	s_barrier
	buffer_gl0_inv
	v_cndmask_b32_e64 v56, 0, 0xe0, s0
	v_cmp_lt_u32_e64 s0, 0x1a3, v0
	v_mul_f64 v[59:60], v[31:32], v[42:43]
	v_mul_f64 v[61:62], v[35:36], v[46:47]
	;; [unrolled: 1-line block ×8, first 2 shown]
	v_fma_f64 v[29:30], v[29:30], v[40:41], -v[59:60]
	v_fma_f64 v[33:34], v[33:34], v[44:45], -v[61:62]
	v_fma_f64 v[31:32], v[31:32], v[40:41], v[42:43]
	v_fma_f64 v[35:36], v[35:36], v[44:45], v[46:47]
	v_fma_f64 v[21:22], v[21:22], v[48:49], -v[63:64]
	v_fma_f64 v[25:26], v[25:26], v[52:53], -v[65:66]
	v_fma_f64 v[23:24], v[23:24], v[48:49], v[50:51]
	v_fma_f64 v[27:28], v[27:28], v[52:53], v[54:55]
	v_cndmask_b32_e64 v63, 0, 0xe0, s0
	s_mov_b32 s0, s6
	v_add_f64 v[48:49], v[17:18], v[29:30]
	v_add_f64 v[40:41], v[29:30], v[33:34]
	v_add_f64 v[29:30], v[29:30], -v[33:34]
	v_add_f64 v[42:43], v[31:32], v[35:36]
	v_add_f64 v[50:51], v[31:32], -v[35:36]
	v_add_f64 v[44:45], v[21:22], v[25:26]
	v_add_f64 v[31:32], v[19:20], v[31:32]
	;; [unrolled: 1-line block ×5, first 2 shown]
	v_add_f64 v[59:60], v[23:24], -v[27:28]
	v_add_f64 v[61:62], v[21:22], -v[25:26]
	v_fma_f64 v[40:41], v[40:41], -0.5, v[17:18]
	v_fma_f64 v[42:43], v[42:43], -0.5, v[19:20]
	;; [unrolled: 1-line block ×3, first 2 shown]
	v_add_f64 v[13:14], v[48:49], v[33:34]
	v_fma_f64 v[46:47], v[46:47], -0.5, v[15:16]
	v_add_f64 v[15:16], v[31:32], v[35:36]
	v_add_f64 v[17:18], v[52:53], v[25:26]
	;; [unrolled: 1-line block ×3, first 2 shown]
	v_fma_f64 v[21:22], v[50:51], s[6:7], v[40:41]
	v_fma_f64 v[25:26], v[50:51], s[0:1], v[40:41]
	;; [unrolled: 1-line block ×8, first 2 shown]
	v_add_nc_u32_e32 v40, v56, v57
	v_add_nc_u32_e32 v41, v58, v63
	v_mul_u32_u24_e32 v40, 0x60, v40
	v_mul_u32_u24_e32 v41, 0x60, v41
	v_add3_u32 v40, 0, v40, v38
	v_add3_u32 v38, 0, v41, v38
	ds_write_b128 v40, v[13:16]
	ds_write_b128 v40, v[21:24] offset:10752
	ds_write_b128 v40, v[25:28] offset:21504
	ds_write_b128 v38, v[17:20]
	ds_write_b128 v38, v[29:32] offset:10752
	ds_write_b128 v38, v[33:36] offset:21504
	s_and_saveexec_b32 s4, vcc_lo
	s_cbranch_execz .LBB0_12
; %bb.11:
	v_lshrrev_b16 v13, 4, v39
	v_mul_lo_u16 v13, v13, 37
	v_lshrrev_b16 v13, 4, v13
	v_and_b32_e32 v13, 48, v13
	v_add_nc_u16 v13, v39, v13
	v_lshlrev_b16 v13, 1, v13
	v_and_b32_e32 v13, 0xfe, v13
	v_lshlrev_b32_e32 v17, 4, v13
	s_clause 0x1
	global_load_dwordx4 v[13:16], v17, s[20:21] offset:1680
	global_load_dwordx4 v[17:20], v17, s[20:21] offset:1696
	s_waitcnt vmcnt(1)
	v_mul_f64 v[21:22], v[5:6], v[15:16]
	s_waitcnt vmcnt(0)
	v_mul_f64 v[23:24], v[1:2], v[19:20]
	v_mul_f64 v[15:16], v[7:8], v[15:16]
	;; [unrolled: 1-line block ×3, first 2 shown]
	v_fma_f64 v[7:8], v[7:8], v[13:14], v[21:22]
	v_fma_f64 v[3:4], v[3:4], v[17:18], v[23:24]
	v_fma_f64 v[5:6], v[5:6], v[13:14], -v[15:16]
	v_fma_f64 v[1:2], v[1:2], v[17:18], -v[19:20]
	v_add_f64 v[19:20], v[11:12], v[7:8]
	v_add_f64 v[13:14], v[7:8], v[3:4]
	;; [unrolled: 1-line block ×3, first 2 shown]
	v_add_f64 v[17:18], v[5:6], -v[1:2]
	v_add_f64 v[5:6], v[9:10], v[5:6]
	v_fma_f64 v[11:12], v[13:14], -0.5, v[11:12]
	v_add_f64 v[13:14], v[7:8], -v[3:4]
	v_fma_f64 v[15:16], v[15:16], -0.5, v[9:10]
	v_add_f64 v[3:4], v[19:20], v[3:4]
	v_add_f64 v[1:2], v[5:6], v[1:2]
	v_fma_f64 v[7:8], v[17:18], s[6:7], v[11:12]
	v_fma_f64 v[11:12], v[17:18], s[0:1], v[11:12]
	;; [unrolled: 1-line block ×4, first 2 shown]
	ds_write_b128 v37, v[1:4] offset:8064
	ds_write_b128 v37, v[9:12] offset:18816
	;; [unrolled: 1-line block ×3, first 2 shown]
.LBB0_12:
	s_or_b32 exec_lo, exec_lo, s4
	s_mul_i32 s0, s10, s19
	s_mul_hi_u32 s1, s10, s17
	s_mul_i32 s4, s11, s17
	s_add_i32 s0, s1, s0
	s_mul_hi_u32 s5, s12, s16
	s_add_i32 s0, s0, s4
	s_mul_i32 s4, s13, s16
	s_mul_i32 s1, s10, s17
	;; [unrolled: 1-line block ×3, first 2 shown]
	s_add_i32 s5, s5, s4
	s_add_u32 s1, s6, s1
	s_mul_i32 s4, s15, s18
	s_mul_hi_u32 s6, s14, s18
	s_addc_u32 s0, s5, s0
	s_add_i32 s6, s6, s4
	s_mul_i32 s4, s14, s18
	s_waitcnt lgkmcnt(0)
	s_add_u32 s4, s4, s1
	s_addc_u32 s5, s6, s0
	s_andn2_b32 vcc_lo, exec_lo, s22
	s_mov_b32 s0, -1
	s_barrier
	buffer_gl0_inv
	s_cbranch_vccz .LBB0_15
; %bb.13:
	s_and_b32 vcc_lo, exec_lo, s0
	s_cbranch_vccnz .LBB0_18
.LBB0_14:
	s_endpgm
.LBB0_15:
	s_lshl_b64 s[6:7], s[4:5], 4
	v_mov_b32_e32 v1, 0xc31
	v_mov_b32_e32 v2, v0
	s_add_u32 s1, s2, s6
	s_addc_u32 s7, s3, s7
	s_mov_b32 s6, 0
.LBB0_16:                               ; =>This Inner Loop Header: Depth=1
	v_lshrrev_b16 v3, 4, v2
	v_mul_u32_u24_sdwa v3, v3, v1 dst_sel:DWORD dst_unused:UNUSED_PAD src0_sel:WORD_0 src1_sel:DWORD
	v_lshrrev_b32_e32 v6, 16, v3
	v_mul_lo_u16 v3, 0x150, v6
	v_mad_u64_u32 v[7:8], null, s10, v6, 0
	v_sub_nc_u16 v4, v2, v3
	v_add_nc_u32_e32 v2, 0xfc, v2
	v_mov_b32_e32 v3, v8
	v_and_b32_e32 v5, 0xffff, v4
	v_mad_u16 v4, v4, 6, v6
	v_mad_u64_u32 v[9:10], null, s8, v5, 0
	v_and_b32_e32 v8, 0xffff, v4
	v_lshl_add_u32 v8, v8, 4, 0
	v_mov_b32_e32 v4, v10
	v_mad_u64_u32 v[4:5], null, s9, v5, v[4:5]
	v_mad_u64_u32 v[11:12], null, s11, v6, v[3:4]
	v_mov_b32_e32 v10, v4
	ds_read_b128 v[3:6], v8
	v_lshlrev_b64 v[9:10], 4, v[9:10]
	v_mov_b32_e32 v8, v11
	v_add_co_u32 v9, vcc_lo, s1, v9
	v_lshlrev_b64 v[7:8], 4, v[7:8]
	v_add_co_ci_u32_e32 v10, vcc_lo, s7, v10, vcc_lo
	v_cmp_lt_u32_e32 vcc_lo, 0x7df, v2
	v_add_co_u32 v7, s0, v9, v7
	v_add_co_ci_u32_e64 v8, s0, v10, v8, s0
	s_or_b32 s6, vcc_lo, s6
	s_waitcnt lgkmcnt(0)
	global_store_dwordx4 v[7:8], v[3:6], off
	s_andn2_b32 exec_lo, exec_lo, s6
	s_cbranch_execnz .LBB0_16
; %bb.17:
	s_or_b32 exec_lo, exec_lo, s6
	s_branch .LBB0_14
.LBB0_18:
	v_add_nc_u16 v1, v0, 0xfc
	v_mov_b32_e32 v2, 0x187
	v_mul_lo_u16 v3, v0, 6
	v_add_nc_u16 v9, v0, 0x1f8
	v_mov_b32_e32 v23, 0x619
	v_and_b32_e32 v7, 0xffff, v0
	v_mul_u32_u24_sdwa v2, v1, v2 dst_sel:DWORD dst_unused:UNUSED_PAD src0_sel:WORD_0 src1_sel:DWORD
	s_lshl_b64 s[0:1], s[4:5], 4
	v_add_nc_u16 v20, v0, 0x2f4
	v_mul_u32_u24_sdwa v4, v9, v23 dst_sel:DWORD dst_unused:UNUSED_PAD src0_sel:WORD_0 src1_sel:DWORD
	v_mad_u64_u32 v[5:6], null, s8, v7, 0
	v_lshrrev_b32_e32 v11, 17, v2
	v_and_b32_e32 v2, 0xffff, v3
	v_lshrrev_b32_e32 v21, 19, v4
	s_add_u32 s0, s2, s0
	s_addc_u32 s1, s3, s1
	v_mul_lo_u16 v3, 0x150, v11
	v_mad_u64_u32 v[6:7], null, s9, v7, v[6:7]
	v_mul_lo_u16 v12, 0x150, v21
	v_lshl_add_u32 v2, v2, 4, 0
	v_sub_nc_u16 v10, v1, v3
	v_mul_lo_u32 v16, s11, v11
	v_mul_u32_u24_sdwa v22, v20, v23 dst_sel:DWORD dst_unused:UNUSED_PAD src0_sel:WORD_0 src1_sel:DWORD
	v_sub_nc_u16 v24, v9, v12
	ds_read_b128 v[1:4], v2
	v_and_b32_e32 v13, 0xffff, v10
	v_mul_lo_u16 v12, v10, 6
	v_mad_u64_u32 v[9:10], null, s10, v11, 0
	v_and_b32_e32 v25, 0xffff, v24
	v_mad_u64_u32 v[7:8], null, s8, v13, 0
	v_or_b32_e32 v15, v12, v11
	v_lshlrev_b64 v[5:6], 4, v[5:6]
	v_mad_u64_u32 v[11:12], null, s8, v25, 0
	v_or_b32_e32 v10, v10, v16
	v_mad_u64_u32 v[13:14], null, s9, v13, v[8:9]
	v_and_b32_e32 v8, 0xffff, v15
	v_add_co_u32 v16, vcc_lo, s0, v5
	v_mad_u64_u32 v[14:15], null, s10, v21, 0
	v_lshl_add_u32 v26, v8, 4, 0
	v_mov_b32_e32 v8, v13
	v_add_co_ci_u32_e32 v17, vcc_lo, s1, v6, vcc_lo
	v_mad_u64_u32 v[12:13], null, s9, v25, v[12:13]
	v_lshlrev_b64 v[18:19], 4, v[7:8]
	ds_read_b128 v[5:8], v26
	s_waitcnt lgkmcnt(1)
	global_store_dwordx4 v[16:17], v[1:4], off
	v_mov_b32_e32 v3, v15
	v_lshlrev_b64 v[1:2], 4, v[9:10]
	v_mad_u16 v9, v24, 6, v21
	v_add_co_u32 v13, vcc_lo, s0, v18
	v_add_co_ci_u32_e32 v16, vcc_lo, s1, v19, vcc_lo
	v_lshrrev_b32_e32 v19, 19, v22
	v_mad_u64_u32 v[3:4], null, s11, v21, v[3:4]
	v_add_nc_u16 v18, v0, 0x3f0
	v_lshlrev_b64 v[11:12], 4, v[11:12]
	v_mul_lo_u16 v15, 0x150, v19
	v_and_b32_e32 v4, 0xffff, v9
	v_add_co_u32 v9, vcc_lo, v13, v1
	v_mul_u32_u24_sdwa v13, v18, v23 dst_sel:DWORD dst_unused:UNUSED_PAD src0_sel:WORD_0 src1_sel:DWORD
	v_sub_nc_u16 v17, v20, v15
	v_mov_b32_e32 v15, v3
	v_add_co_ci_u32_e32 v10, vcc_lo, v16, v2, vcc_lo
	v_add_co_u32 v21, vcc_lo, s0, v11
	v_and_b32_e32 v20, 0xffff, v17
	v_lshrrev_b32_e32 v24, 19, v13
	v_lshl_add_u32 v1, v4, 4, 0
	v_add_co_ci_u32_e32 v22, vcc_lo, s1, v12, vcc_lo
	v_lshlrev_b64 v[11:12], 4, v[14:15]
	v_mad_u64_u32 v[13:14], null, s8, v20, 0
	v_mad_u64_u32 v[15:16], null, s10, v19, 0
	v_mad_u16 v17, v17, 6, v19
	v_mul_lo_u16 v25, 0x150, v24
	ds_read_b128 v[1:4], v1
	v_add_co_u32 v11, vcc_lo, v21, v11
	v_add_co_ci_u32_e32 v12, vcc_lo, v22, v12, vcc_lo
	v_sub_nc_u16 v21, v18, v25
	v_and_b32_e32 v22, 0xffff, v17
	v_mad_u64_u32 v[17:18], null, s9, v20, v[14:15]
	s_waitcnt lgkmcnt(1)
	global_store_dwordx4 v[9:10], v[5:8], off
	v_and_b32_e32 v25, 0xffff, v21
	v_mad_u64_u32 v[9:10], null, s10, v24, 0
	v_mad_u64_u32 v[18:19], null, s11, v19, v[16:17]
	v_lshl_add_u32 v16, v22, 4, 0
	v_mov_b32_e32 v14, v17
	v_add_nc_u16 v17, v0, 0x4ec
	v_mad_u64_u32 v[19:20], null, s8, v25, 0
	ds_read_b128 v[5:8], v16
	s_waitcnt lgkmcnt(1)
	global_store_dwordx4 v[11:12], v[1:4], off
	v_mul_u32_u24_sdwa v11, v17, v23 dst_sel:DWORD dst_unused:UNUSED_PAD src0_sel:WORD_0 src1_sel:DWORD
	v_mov_b32_e32 v16, v18
	v_lshlrev_b64 v[1:2], 4, v[13:14]
	v_mov_b32_e32 v3, v20
	v_lshrrev_b32_e32 v18, 19, v11
	v_add_co_u32 v11, vcc_lo, s0, v1
	v_mad_u64_u32 v[3:4], null, s9, v25, v[3:4]
	v_mul_lo_u16 v13, 0x150, v18
	v_mov_b32_e32 v4, v10
	v_add_co_ci_u32_e32 v12, vcc_lo, s1, v2, vcc_lo
	v_lshlrev_b64 v[1:2], 4, v[15:16]
	v_mad_u16 v10, v21, 6, v24
	v_sub_nc_u16 v15, v17, v13
	v_mov_b32_e32 v20, v3
	s_waitcnt lgkmcnt(0)
	v_mad_u64_u32 v[3:4], null, s11, v24, v[4:5]
	v_and_b32_e32 v4, 0xffff, v10
	v_add_co_u32 v21, vcc_lo, v11, v1
	v_and_b32_e32 v11, 0xffff, v15
	v_add_co_ci_u32_e32 v22, vcc_lo, v12, v2, vcc_lo
	v_mov_b32_e32 v10, v3
	v_lshl_add_u32 v17, v4, 4, 0
	v_lshlrev_b64 v[1:2], 4, v[19:20]
	v_mad_u64_u32 v[3:4], null, s8, v11, 0
	v_mad_u64_u32 v[13:14], null, s10, v18, 0
	v_add_nc_u16 v16, v0, 0x5e8
	v_add_co_u32 v19, vcc_lo, s0, v1
	v_add_co_ci_u32_e32 v20, vcc_lo, s1, v2, vcc_lo
	v_mov_b32_e32 v1, v4
	v_mov_b32_e32 v2, v14
	v_mul_u32_u24_sdwa v4, v16, v23 dst_sel:DWORD dst_unused:UNUSED_PAD src0_sel:WORD_0 src1_sel:DWORD
	v_add_nc_u16 v25, v0, 0x6e4
	v_lshlrev_b64 v[9:10], 4, v[9:10]
	v_mad_u64_u32 v[11:12], null, s9, v11, v[1:2]
	v_lshrrev_b32_e32 v29, 19, v4
	v_mul_u32_u24_sdwa v12, v25, v23 dst_sel:DWORD dst_unused:UNUSED_PAD src0_sel:WORD_0 src1_sel:DWORD
	v_mad_u64_u32 v[0:1], null, s11, v18, v[2:3]
	v_mad_u16 v1, v15, 6, v18
	v_mul_lo_u16 v2, 0x150, v29
	v_mov_b32_e32 v4, v11
	v_lshrrev_b32_e32 v31, 19, v12
	v_add_co_u32 v23, vcc_lo, v19, v9
	v_add_co_ci_u32_e32 v24, vcc_lo, v20, v10, vcc_lo
	v_sub_nc_u16 v20, v16, v2
	v_and_b32_e32 v1, 0xffff, v1
	v_lshlrev_b64 v[15:16], 4, v[3:4]
	v_mul_lo_u16 v4, 0x150, v31
	v_mov_b32_e32 v14, v0
	v_and_b32_e32 v19, 0xffff, v20
	v_lshl_add_u32 v9, v1, 4, 0
	ds_read_b128 v[0:3], v17
	ds_read_b128 v[9:12], v9
	v_sub_nc_u16 v32, v25, v4
	v_mad_u64_u32 v[17:18], null, s8, v19, 0
	v_mad_u64_u32 v[25:26], null, s10, v29, 0
	v_and_b32_e32 v33, 0xffff, v32
	v_add_co_u32 v27, vcc_lo, s0, v15
	v_lshlrev_b64 v[13:14], 4, v[13:14]
	v_add_co_ci_u32_e32 v28, vcc_lo, s1, v16, vcc_lo
	v_mad_u64_u32 v[15:16], null, s8, v33, 0
	v_mov_b32_e32 v4, v18
	v_add_co_u32 v27, vcc_lo, v27, v13
	v_mov_b32_e32 v13, v26
	v_add_co_ci_u32_e32 v28, vcc_lo, v28, v14, vcc_lo
	v_mad_u64_u32 v[18:19], null, s9, v19, v[4:5]
	v_mad_u16 v19, v20, 6, v29
	v_mov_b32_e32 v4, v16
	v_mad_u64_u32 v[13:14], null, s11, v29, v[13:14]
	v_mad_u64_u32 v[29:30], null, s10, v31, 0
	v_mad_u16 v16, v32, 6, v31
	v_and_b32_e32 v14, 0xffff, v19
	v_mad_u64_u32 v[19:20], null, s9, v33, v[4:5]
	v_mov_b32_e32 v26, v13
	v_and_b32_e32 v32, 0xffff, v16
	v_mov_b32_e32 v4, v30
	v_lshl_add_u32 v20, v14, 4, 0
	v_lshlrev_b64 v[13:14], 4, v[17:18]
	v_lshlrev_b64 v[25:26], 4, v[25:26]
	v_mov_b32_e32 v16, v19
	v_mad_u64_u32 v[30:31], null, s11, v31, v[4:5]
	v_lshl_add_u32 v4, v32, 4, 0
	v_add_co_u32 v33, vcc_lo, s0, v13
	v_add_co_ci_u32_e32 v34, vcc_lo, s1, v14, vcc_lo
	v_lshlrev_b64 v[31:32], 4, v[15:16]
	ds_read_b128 v[13:16], v20
	ds_read_b128 v[17:20], v4
	v_lshlrev_b64 v[29:30], 4, v[29:30]
	v_add_co_u32 v4, vcc_lo, s0, v31
	v_add_co_ci_u32_e32 v31, vcc_lo, s1, v32, vcc_lo
	v_add_co_u32 v25, vcc_lo, v33, v25
	v_add_co_ci_u32_e32 v26, vcc_lo, v34, v26, vcc_lo
	;; [unrolled: 2-line block ×3, first 2 shown]
	global_store_dwordx4 v[21:22], v[5:8], off
	s_waitcnt lgkmcnt(3)
	global_store_dwordx4 v[23:24], v[0:3], off
	s_waitcnt lgkmcnt(2)
	;; [unrolled: 2-line block ×4, first 2 shown]
	global_store_dwordx4 v[29:30], v[17:20], off
	s_endpgm
	.section	.rodata,"a",@progbits
	.p2align	6, 0x0
	.amdhsa_kernel fft_rtc_fwd_len336_factors_7_8_2_3_wgs_252_tpt_42_dim3_dp_op_CI_CI_sbcr_dirReg_intrinsicReadWrite
		.amdhsa_group_segment_fixed_size 0
		.amdhsa_private_segment_fixed_size 0
		.amdhsa_kernarg_size 96
		.amdhsa_user_sgpr_count 6
		.amdhsa_user_sgpr_private_segment_buffer 1
		.amdhsa_user_sgpr_dispatch_ptr 0
		.amdhsa_user_sgpr_queue_ptr 0
		.amdhsa_user_sgpr_kernarg_segment_ptr 1
		.amdhsa_user_sgpr_dispatch_id 0
		.amdhsa_user_sgpr_flat_scratch_init 0
		.amdhsa_user_sgpr_private_segment_size 0
		.amdhsa_wavefront_size32 1
		.amdhsa_uses_dynamic_stack 0
		.amdhsa_system_sgpr_private_segment_wavefront_offset 0
		.amdhsa_system_sgpr_workgroup_id_x 1
		.amdhsa_system_sgpr_workgroup_id_y 0
		.amdhsa_system_sgpr_workgroup_id_z 0
		.amdhsa_system_sgpr_workgroup_info 0
		.amdhsa_system_vgpr_workitem_id 0
		.amdhsa_next_free_vgpr 90
		.amdhsa_next_free_sgpr 36
		.amdhsa_reserve_vcc 1
		.amdhsa_reserve_flat_scratch 0
		.amdhsa_float_round_mode_32 0
		.amdhsa_float_round_mode_16_64 0
		.amdhsa_float_denorm_mode_32 3
		.amdhsa_float_denorm_mode_16_64 3
		.amdhsa_dx10_clamp 1
		.amdhsa_ieee_mode 1
		.amdhsa_fp16_overflow 0
		.amdhsa_workgroup_processor_mode 1
		.amdhsa_memory_ordered 1
		.amdhsa_forward_progress 0
		.amdhsa_shared_vgpr_count 0
		.amdhsa_exception_fp_ieee_invalid_op 0
		.amdhsa_exception_fp_denorm_src 0
		.amdhsa_exception_fp_ieee_div_zero 0
		.amdhsa_exception_fp_ieee_overflow 0
		.amdhsa_exception_fp_ieee_underflow 0
		.amdhsa_exception_fp_ieee_inexact 0
		.amdhsa_exception_int_div_zero 0
	.end_amdhsa_kernel
	.text
.Lfunc_end0:
	.size	fft_rtc_fwd_len336_factors_7_8_2_3_wgs_252_tpt_42_dim3_dp_op_CI_CI_sbcr_dirReg_intrinsicReadWrite, .Lfunc_end0-fft_rtc_fwd_len336_factors_7_8_2_3_wgs_252_tpt_42_dim3_dp_op_CI_CI_sbcr_dirReg_intrinsicReadWrite
                                        ; -- End function
	.section	.AMDGPU.csdata,"",@progbits
; Kernel info:
; codeLenInByte = 7844
; NumSgprs: 38
; NumVgprs: 90
; ScratchSize: 0
; MemoryBound: 0
; FloatMode: 240
; IeeeMode: 1
; LDSByteSize: 0 bytes/workgroup (compile time only)
; SGPRBlocks: 4
; VGPRBlocks: 11
; NumSGPRsForWavesPerEU: 38
; NumVGPRsForWavesPerEU: 90
; Occupancy: 10
; WaveLimiterHint : 1
; COMPUTE_PGM_RSRC2:SCRATCH_EN: 0
; COMPUTE_PGM_RSRC2:USER_SGPR: 6
; COMPUTE_PGM_RSRC2:TRAP_HANDLER: 0
; COMPUTE_PGM_RSRC2:TGID_X_EN: 1
; COMPUTE_PGM_RSRC2:TGID_Y_EN: 0
; COMPUTE_PGM_RSRC2:TGID_Z_EN: 0
; COMPUTE_PGM_RSRC2:TIDIG_COMP_CNT: 0
	.text
	.p2alignl 6, 3214868480
	.fill 48, 4, 3214868480
	.type	__hip_cuid_5958d19fd6f3304f,@object ; @__hip_cuid_5958d19fd6f3304f
	.section	.bss,"aw",@nobits
	.globl	__hip_cuid_5958d19fd6f3304f
__hip_cuid_5958d19fd6f3304f:
	.byte	0                               ; 0x0
	.size	__hip_cuid_5958d19fd6f3304f, 1

	.ident	"AMD clang version 19.0.0git (https://github.com/RadeonOpenCompute/llvm-project roc-6.4.0 25133 c7fe45cf4b819c5991fe208aaa96edf142730f1d)"
	.section	".note.GNU-stack","",@progbits
	.addrsig
	.addrsig_sym __hip_cuid_5958d19fd6f3304f
	.amdgpu_metadata
---
amdhsa.kernels:
  - .args:
      - .actual_access:  read_only
        .address_space:  global
        .offset:         0
        .size:           8
        .value_kind:     global_buffer
      - .actual_access:  read_only
        .address_space:  global
        .offset:         8
        .size:           8
        .value_kind:     global_buffer
      - .actual_access:  read_only
        .address_space:  global
        .offset:         16
        .size:           8
        .value_kind:     global_buffer
      - .actual_access:  read_only
        .address_space:  global
        .offset:         24
        .size:           8
        .value_kind:     global_buffer
      - .offset:         32
        .size:           8
        .value_kind:     by_value
      - .actual_access:  read_only
        .address_space:  global
        .offset:         40
        .size:           8
        .value_kind:     global_buffer
      - .actual_access:  read_only
        .address_space:  global
        .offset:         48
        .size:           8
        .value_kind:     global_buffer
      - .offset:         56
        .size:           4
        .value_kind:     by_value
      - .actual_access:  read_only
        .address_space:  global
        .offset:         64
        .size:           8
        .value_kind:     global_buffer
      - .actual_access:  read_only
        .address_space:  global
        .offset:         72
        .size:           8
        .value_kind:     global_buffer
      - .address_space:  global
        .offset:         80
        .size:           8
        .value_kind:     global_buffer
      - .actual_access:  write_only
        .address_space:  global
        .offset:         88
        .size:           8
        .value_kind:     global_buffer
    .group_segment_fixed_size: 0
    .kernarg_segment_align: 8
    .kernarg_segment_size: 96
    .language:       OpenCL C
    .language_version:
      - 2
      - 0
    .max_flat_workgroup_size: 252
    .name:           fft_rtc_fwd_len336_factors_7_8_2_3_wgs_252_tpt_42_dim3_dp_op_CI_CI_sbcr_dirReg_intrinsicReadWrite
    .private_segment_fixed_size: 0
    .sgpr_count:     38
    .sgpr_spill_count: 0
    .symbol:         fft_rtc_fwd_len336_factors_7_8_2_3_wgs_252_tpt_42_dim3_dp_op_CI_CI_sbcr_dirReg_intrinsicReadWrite.kd
    .uniform_work_group_size: 1
    .uses_dynamic_stack: false
    .vgpr_count:     90
    .vgpr_spill_count: 0
    .wavefront_size: 32
    .workgroup_processor_mode: 1
amdhsa.target:   amdgcn-amd-amdhsa--gfx1030
amdhsa.version:
  - 1
  - 2
...

	.end_amdgpu_metadata
